;; amdgpu-corpus repo=ROCm/rocFFT kind=compiled arch=gfx1030 opt=O3
	.text
	.amdgcn_target "amdgcn-amd-amdhsa--gfx1030"
	.amdhsa_code_object_version 6
	.protected	fft_rtc_back_len238_factors_17_7_2_wgs_51_tpt_17_halfLds_dp_ip_CI_unitstride_sbrr_dirReg ; -- Begin function fft_rtc_back_len238_factors_17_7_2_wgs_51_tpt_17_halfLds_dp_ip_CI_unitstride_sbrr_dirReg
	.globl	fft_rtc_back_len238_factors_17_7_2_wgs_51_tpt_17_halfLds_dp_ip_CI_unitstride_sbrr_dirReg
	.p2align	8
	.type	fft_rtc_back_len238_factors_17_7_2_wgs_51_tpt_17_halfLds_dp_ip_CI_unitstride_sbrr_dirReg,@function
fft_rtc_back_len238_factors_17_7_2_wgs_51_tpt_17_halfLds_dp_ip_CI_unitstride_sbrr_dirReg: ; @fft_rtc_back_len238_factors_17_7_2_wgs_51_tpt_17_halfLds_dp_ip_CI_unitstride_sbrr_dirReg
; %bb.0:
	s_load_dwordx4 s[8:11], s[4:5], 0x0
	v_mul_u32_u24_e32 v1, 0xf10, v0
	s_clause 0x1
	s_load_dwordx2 s[2:3], s[4:5], 0x50
	s_load_dwordx2 s[12:13], s[4:5], 0x18
	v_mov_b32_e32 v3, 0
	v_lshrrev_b32_e32 v1, 16, v1
	v_mad_u64_u32 v[68:69], null, s6, 3, v[1:2]
	v_mov_b32_e32 v69, v3
	v_mov_b32_e32 v1, 0
	;; [unrolled: 1-line block ×4, first 2 shown]
	s_waitcnt lgkmcnt(0)
	v_cmp_lt_u64_e64 s0, s[10:11], 2
	v_mov_b32_e32 v8, v69
	s_and_b32 vcc_lo, exec_lo, s0
	s_cbranch_vccnz .LBB0_8
; %bb.1:
	s_load_dwordx2 s[0:1], s[4:5], 0x10
	v_mov_b32_e32 v1, 0
	v_mov_b32_e32 v5, v68
	s_add_u32 s6, s12, 8
	v_mov_b32_e32 v2, 0
	v_mov_b32_e32 v6, v69
	s_addc_u32 s7, s13, 0
	s_mov_b64 s[16:17], 1
	s_waitcnt lgkmcnt(0)
	s_add_u32 s14, s0, 8
	s_addc_u32 s15, s1, 0
.LBB0_2:                                ; =>This Inner Loop Header: Depth=1
	s_load_dwordx2 s[18:19], s[14:15], 0x0
                                        ; implicit-def: $vgpr7_vgpr8
	s_mov_b32 s0, exec_lo
	s_waitcnt lgkmcnt(0)
	v_or_b32_e32 v4, s19, v6
	v_cmpx_ne_u64_e32 0, v[3:4]
	s_xor_b32 s1, exec_lo, s0
	s_cbranch_execz .LBB0_4
; %bb.3:                                ;   in Loop: Header=BB0_2 Depth=1
	v_cvt_f32_u32_e32 v4, s18
	v_cvt_f32_u32_e32 v7, s19
	s_sub_u32 s0, 0, s18
	s_subb_u32 s20, 0, s19
	v_fmac_f32_e32 v4, 0x4f800000, v7
	v_rcp_f32_e32 v4, v4
	v_mul_f32_e32 v4, 0x5f7ffffc, v4
	v_mul_f32_e32 v7, 0x2f800000, v4
	v_trunc_f32_e32 v7, v7
	v_fmac_f32_e32 v4, 0xcf800000, v7
	v_cvt_u32_f32_e32 v7, v7
	v_cvt_u32_f32_e32 v4, v4
	v_mul_lo_u32 v8, s0, v7
	v_mul_hi_u32 v9, s0, v4
	v_mul_lo_u32 v10, s20, v4
	v_add_nc_u32_e32 v8, v9, v8
	v_mul_lo_u32 v9, s0, v4
	v_add_nc_u32_e32 v8, v8, v10
	v_mul_hi_u32 v10, v4, v9
	v_mul_lo_u32 v11, v4, v8
	v_mul_hi_u32 v12, v4, v8
	v_mul_hi_u32 v13, v7, v9
	v_mul_lo_u32 v9, v7, v9
	v_mul_hi_u32 v14, v7, v8
	v_mul_lo_u32 v8, v7, v8
	v_add_co_u32 v10, vcc_lo, v10, v11
	v_add_co_ci_u32_e32 v11, vcc_lo, 0, v12, vcc_lo
	v_add_co_u32 v9, vcc_lo, v10, v9
	v_add_co_ci_u32_e32 v9, vcc_lo, v11, v13, vcc_lo
	v_add_co_ci_u32_e32 v10, vcc_lo, 0, v14, vcc_lo
	v_add_co_u32 v8, vcc_lo, v9, v8
	v_add_co_ci_u32_e32 v9, vcc_lo, 0, v10, vcc_lo
	v_add_co_u32 v4, vcc_lo, v4, v8
	v_add_co_ci_u32_e32 v7, vcc_lo, v7, v9, vcc_lo
	v_mul_hi_u32 v8, s0, v4
	v_mul_lo_u32 v10, s20, v4
	v_mul_lo_u32 v9, s0, v7
	v_add_nc_u32_e32 v8, v8, v9
	v_mul_lo_u32 v9, s0, v4
	v_add_nc_u32_e32 v8, v8, v10
	v_mul_hi_u32 v10, v4, v9
	v_mul_lo_u32 v11, v4, v8
	v_mul_hi_u32 v12, v4, v8
	v_mul_hi_u32 v13, v7, v9
	v_mul_lo_u32 v9, v7, v9
	v_mul_hi_u32 v14, v7, v8
	v_mul_lo_u32 v8, v7, v8
	v_add_co_u32 v10, vcc_lo, v10, v11
	v_add_co_ci_u32_e32 v11, vcc_lo, 0, v12, vcc_lo
	v_add_co_u32 v9, vcc_lo, v10, v9
	v_add_co_ci_u32_e32 v9, vcc_lo, v11, v13, vcc_lo
	v_add_co_ci_u32_e32 v10, vcc_lo, 0, v14, vcc_lo
	v_add_co_u32 v8, vcc_lo, v9, v8
	v_add_co_ci_u32_e32 v9, vcc_lo, 0, v10, vcc_lo
	v_add_co_u32 v4, vcc_lo, v4, v8
	v_add_co_ci_u32_e32 v11, vcc_lo, v7, v9, vcc_lo
	v_mul_hi_u32 v13, v5, v4
	v_mad_u64_u32 v[9:10], null, v6, v4, 0
	v_mad_u64_u32 v[7:8], null, v5, v11, 0
	v_mad_u64_u32 v[11:12], null, v6, v11, 0
	v_add_co_u32 v4, vcc_lo, v13, v7
	v_add_co_ci_u32_e32 v7, vcc_lo, 0, v8, vcc_lo
	v_add_co_u32 v4, vcc_lo, v4, v9
	v_add_co_ci_u32_e32 v4, vcc_lo, v7, v10, vcc_lo
	v_add_co_ci_u32_e32 v7, vcc_lo, 0, v12, vcc_lo
	v_add_co_u32 v4, vcc_lo, v4, v11
	v_add_co_ci_u32_e32 v9, vcc_lo, 0, v7, vcc_lo
	v_mul_lo_u32 v10, s19, v4
	v_mad_u64_u32 v[7:8], null, s18, v4, 0
	v_mul_lo_u32 v11, s18, v9
	v_sub_co_u32 v7, vcc_lo, v5, v7
	v_add3_u32 v8, v8, v11, v10
	v_sub_nc_u32_e32 v10, v6, v8
	v_subrev_co_ci_u32_e64 v10, s0, s19, v10, vcc_lo
	v_add_co_u32 v11, s0, v4, 2
	v_add_co_ci_u32_e64 v12, s0, 0, v9, s0
	v_sub_co_u32 v13, s0, v7, s18
	v_sub_co_ci_u32_e32 v8, vcc_lo, v6, v8, vcc_lo
	v_subrev_co_ci_u32_e64 v10, s0, 0, v10, s0
	v_cmp_le_u32_e32 vcc_lo, s18, v13
	v_cmp_eq_u32_e64 s0, s19, v8
	v_cndmask_b32_e64 v13, 0, -1, vcc_lo
	v_cmp_le_u32_e32 vcc_lo, s19, v10
	v_cndmask_b32_e64 v14, 0, -1, vcc_lo
	v_cmp_le_u32_e32 vcc_lo, s18, v7
	;; [unrolled: 2-line block ×3, first 2 shown]
	v_cndmask_b32_e64 v15, 0, -1, vcc_lo
	v_cmp_eq_u32_e32 vcc_lo, s19, v10
	v_cndmask_b32_e64 v7, v15, v7, s0
	v_cndmask_b32_e32 v10, v14, v13, vcc_lo
	v_add_co_u32 v13, vcc_lo, v4, 1
	v_add_co_ci_u32_e32 v14, vcc_lo, 0, v9, vcc_lo
	v_cmp_ne_u32_e32 vcc_lo, 0, v10
	v_cndmask_b32_e32 v8, v14, v12, vcc_lo
	v_cndmask_b32_e32 v10, v13, v11, vcc_lo
	v_cmp_ne_u32_e32 vcc_lo, 0, v7
	v_cndmask_b32_e32 v8, v9, v8, vcc_lo
	v_cndmask_b32_e32 v7, v4, v10, vcc_lo
.LBB0_4:                                ;   in Loop: Header=BB0_2 Depth=1
	s_andn2_saveexec_b32 s0, s1
	s_cbranch_execz .LBB0_6
; %bb.5:                                ;   in Loop: Header=BB0_2 Depth=1
	v_cvt_f32_u32_e32 v4, s18
	s_sub_i32 s1, 0, s18
	v_rcp_iflag_f32_e32 v4, v4
	v_mul_f32_e32 v4, 0x4f7ffffe, v4
	v_cvt_u32_f32_e32 v4, v4
	v_mul_lo_u32 v7, s1, v4
	v_mul_hi_u32 v7, v4, v7
	v_add_nc_u32_e32 v4, v4, v7
	v_mul_hi_u32 v4, v5, v4
	v_mul_lo_u32 v7, v4, s18
	v_add_nc_u32_e32 v8, 1, v4
	v_sub_nc_u32_e32 v7, v5, v7
	v_subrev_nc_u32_e32 v9, s18, v7
	v_cmp_le_u32_e32 vcc_lo, s18, v7
	v_cndmask_b32_e32 v7, v7, v9, vcc_lo
	v_cndmask_b32_e32 v4, v4, v8, vcc_lo
	v_cmp_le_u32_e32 vcc_lo, s18, v7
	v_add_nc_u32_e32 v8, 1, v4
	v_cndmask_b32_e32 v7, v4, v8, vcc_lo
	v_mov_b32_e32 v8, v3
.LBB0_6:                                ;   in Loop: Header=BB0_2 Depth=1
	s_or_b32 exec_lo, exec_lo, s0
	s_load_dwordx2 s[0:1], s[6:7], 0x0
	v_mul_lo_u32 v4, v8, s18
	v_mul_lo_u32 v11, v7, s19
	v_mad_u64_u32 v[9:10], null, v7, s18, 0
	s_add_u32 s16, s16, 1
	s_addc_u32 s17, s17, 0
	s_add_u32 s6, s6, 8
	s_addc_u32 s7, s7, 0
	;; [unrolled: 2-line block ×3, first 2 shown]
	v_add3_u32 v4, v10, v11, v4
	v_sub_co_u32 v5, vcc_lo, v5, v9
	v_sub_co_ci_u32_e32 v4, vcc_lo, v6, v4, vcc_lo
	s_waitcnt lgkmcnt(0)
	v_mul_lo_u32 v6, s1, v5
	v_mul_lo_u32 v4, s0, v4
	v_mad_u64_u32 v[1:2], null, s0, v5, v[1:2]
	v_cmp_ge_u64_e64 s0, s[16:17], s[10:11]
	s_and_b32 vcc_lo, exec_lo, s0
	v_add3_u32 v2, v6, v2, v4
	s_cbranch_vccnz .LBB0_8
; %bb.7:                                ;   in Loop: Header=BB0_2 Depth=1
	v_mov_b32_e32 v5, v7
	v_mov_b32_e32 v6, v8
	s_branch .LBB0_2
.LBB0_8:
	s_lshl_b64 s[0:1], s[10:11], 3
	v_mul_hi_u32 v3, 0xf0f0f10, v0
	s_add_u32 s0, s12, s0
	s_addc_u32 s1, s13, s1
                                        ; implicit-def: $vgpr14_vgpr15
                                        ; implicit-def: $vgpr18_vgpr19
                                        ; implicit-def: $vgpr22_vgpr23
                                        ; implicit-def: $vgpr26_vgpr27
                                        ; implicit-def: $vgpr30_vgpr31
                                        ; implicit-def: $vgpr38_vgpr39
                                        ; implicit-def: $vgpr10_vgpr11
                                        ; implicit-def: $vgpr42_vgpr43
                                        ; implicit-def: $vgpr46_vgpr47
                                        ; implicit-def: $vgpr50_vgpr51
                                        ; implicit-def: $vgpr54_vgpr55
                                        ; implicit-def: $vgpr58_vgpr59
                                        ; implicit-def: $vgpr62_vgpr63
                                        ; implicit-def: $vgpr66_vgpr67
                                        ; implicit-def: $vgpr34_vgpr35
	s_load_dwordx2 s[0:1], s[0:1], 0x0
	s_load_dwordx2 s[4:5], s[4:5], 0x20
	v_mul_u32_u24_e32 v3, 17, v3
	v_sub_nc_u32_e32 v92, v0, v3
	s_waitcnt lgkmcnt(0)
	v_mul_lo_u32 v4, s0, v8
	v_mul_lo_u32 v5, s1, v7
	v_mad_u64_u32 v[1:2], null, s0, v7, v[1:2]
	v_cmp_gt_u64_e32 vcc_lo, s[4:5], v[7:8]
	v_cmp_gt_u32_e64 s0, 14, v92
                                        ; implicit-def: $vgpr6_vgpr7
	s_and_b32 s1, vcc_lo, s0
	v_add3_u32 v2, v5, v2, v4
	v_lshlrev_b64 v[94:95], 4, v[1:2]
                                        ; implicit-def: $vgpr2_vgpr3
	s_and_saveexec_b32 s4, s1
	s_cbranch_execz .LBB0_10
; %bb.9:
	v_mov_b32_e32 v93, 0
	v_add_co_u32 v14, s1, s2, v94
	v_add_co_ci_u32_e64 v15, s1, s3, v95, s1
	v_lshlrev_b64 v[0:1], 4, v[92:93]
	v_or_b32_e32 v2, 0xe0, v92
	v_mov_b32_e32 v3, v93
	v_add_co_u32 v0, s1, v14, v0
	v_add_co_ci_u32_e64 v1, s1, v15, v1, s1
	v_lshlrev_b64 v[2:3], 4, v[2:3]
	v_add_co_u32 v12, s1, 0x800, v0
	v_add_co_ci_u32_e64 v13, s1, 0, v1, s1
	s_clause 0xb
	global_load_dwordx4 v[32:35], v[0:1], off
	global_load_dwordx4 v[64:67], v[0:1], off offset:224
	global_load_dwordx4 v[60:63], v[0:1], off offset:448
	global_load_dwordx4 v[56:59], v[0:1], off offset:672
	global_load_dwordx4 v[52:55], v[0:1], off offset:896
	global_load_dwordx4 v[48:51], v[0:1], off offset:1120
	global_load_dwordx4 v[44:47], v[0:1], off offset:1344
	global_load_dwordx4 v[40:43], v[0:1], off offset:1568
	global_load_dwordx4 v[8:11], v[0:1], off offset:1792
	global_load_dwordx4 v[4:7], v[0:1], off offset:2016
	global_load_dwordx4 v[36:39], v[12:13], off offset:192
	global_load_dwordx4 v[28:31], v[12:13], off offset:416
	v_add_co_u32 v0, s1, v14, v2
	v_add_co_ci_u32_e64 v1, s1, v15, v3, s1
	s_clause 0x4
	global_load_dwordx4 v[24:27], v[12:13], off offset:640
	global_load_dwordx4 v[20:23], v[12:13], off offset:864
	;; [unrolled: 1-line block ×4, first 2 shown]
	global_load_dwordx4 v[0:3], v[0:1], off
.LBB0_10:
	s_or_b32 exec_lo, exec_lo, s4
	v_mul_hi_u32 v69, 0xaaaaaaab, v68
	v_lshrrev_b32_e32 v69, 1, v69
	v_lshl_add_u32 v69, v69, 1, v69
	v_sub_nc_u32_e32 v68, v68, v69
	v_mul_u32_u24_e32 v68, 0xee, v68
	v_lshlrev_b32_e32 v93, 3, v68
	s_and_saveexec_b32 s1, s0
	s_cbranch_execz .LBB0_12
; %bb.11:
	s_waitcnt vmcnt(0)
	v_add_f64 v[70:71], v[0:1], v[64:65]
	s_mov_b32 s10, 0x2b2883cd
	s_mov_b32 s11, 0x3fdc86fa
	v_add_f64 v[68:69], v[66:67], -v[2:3]
	v_add_f64 v[76:77], v[12:13], v[60:61]
	s_mov_b32 s6, 0x7c9e640b
	s_mov_b32 s14, 0x6ed5f1bb
	;; [unrolled: 1-line block ×12, first 2 shown]
	v_add_f64 v[72:73], v[62:63], -v[14:15]
	v_add_f64 v[80:81], v[16:17], v[56:57]
	v_add_f64 v[132:133], v[64:65], v[32:33]
	s_mov_b32 s4, 0x6c9a05f6
	s_mov_b32 s18, 0xeb564b22
	v_mul_f64 v[74:75], v[70:71], s[10:11]
	v_mul_f64 v[78:79], v[70:71], s[26:27]
	;; [unrolled: 1-line block ×7, first 2 shown]
	s_mov_b32 s16, 0x2a9d6da3
	s_mov_b32 s24, 0x7faef3
	;; [unrolled: 1-line block ×15, first 2 shown]
	v_fma_f64 v[116:117], v[68:69], s[6:7], v[74:75]
	s_mov_b32 s42, s38
	v_add_f64 v[84:85], v[58:59], -v[18:19]
	v_add_f64 v[86:87], v[20:21], v[52:53]
	v_mul_f64 v[90:91], v[76:77], s[20:21]
	v_fma_f64 v[118:119], v[68:69], s[16:17], v[78:79]
	v_mul_f64 v[104:105], v[76:77], s[36:37]
	v_fma_f64 v[120:121], v[68:69], s[40:41], v[96:97]
	v_mul_f64 v[102:103], v[80:81], s[24:25]
	v_mul_f64 v[106:107], v[76:77], s[24:25]
	;; [unrolled: 1-line block ×4, first 2 shown]
	v_fma_f64 v[122:123], v[72:73], s[12:13], v[88:89]
	v_fma_f64 v[124:125], v[68:69], s[18:19], v[98:99]
	v_fma_f64 v[128:129], v[68:69], s[42:43], v[112:113]
	v_fma_f64 v[130:131], v[68:69], s[12:13], v[108:109]
	v_add_f64 v[132:133], v[60:61], v[132:133]
	s_mov_b32 s22, 0xacd6c6b4
	s_mov_b32 s54, 0x370991
	;; [unrolled: 1-line block ×5, first 2 shown]
	v_add_f64 v[116:117], v[32:33], v[116:117]
	s_mov_b32 s47, 0x3feca52d
	s_mov_b32 s30, s22
	;; [unrolled: 1-line block ×3, first 2 shown]
	v_add_f64 v[82:83], v[54:55], -v[22:23]
	v_fma_f64 v[126:127], v[72:73], s[18:19], v[90:91]
	v_add_f64 v[118:119], v[32:33], v[118:119]
	v_mul_f64 v[134:135], v[80:81], s[26:27]
	v_fma_f64 v[136:137], v[72:73], s[38:39], v[104:105]
	v_add_f64 v[120:121], v[32:33], v[120:121]
	v_mul_f64 v[138:139], v[86:87], s[28:29]
	v_mul_f64 v[140:141], v[80:81], s[28:29]
	;; [unrolled: 1-line block ×4, first 2 shown]
	v_fma_f64 v[146:147], v[84:85], s[22:23], v[102:103]
	v_fma_f64 v[150:151], v[72:73], s[30:31], v[106:107]
	v_add_f64 v[124:125], v[32:33], v[124:125]
	v_fma_f64 v[152:153], v[72:73], s[46:47], v[114:115]
	v_add_f64 v[128:129], v[32:33], v[128:129]
	;; [unrolled: 2-line block ×3, first 2 shown]
	v_add_f64 v[156:157], v[24:25], v[48:49]
	v_add_f64 v[116:117], v[122:123], v[116:117]
	;; [unrolled: 1-line block ×3, first 2 shown]
	v_mul_f64 v[100:101], v[80:81], s[14:15]
	s_mov_b32 s48, 0x5d8e7cdc
	s_mov_b32 s45, 0x3fe58eea
	;; [unrolled: 1-line block ×4, first 2 shown]
	v_add_f64 v[118:119], v[126:127], v[118:119]
	v_mul_f64 v[126:127], v[86:87], s[10:11]
	v_fma_f64 v[158:159], v[84:85], s[44:45], v[134:135]
	v_add_f64 v[120:121], v[136:137], v[120:121]
	v_add_f64 v[136:137], v[50:51], -v[26:27]
	v_mul_f64 v[160:161], v[86:87], s[54:55]
	v_mul_f64 v[162:163], v[86:87], s[14:15]
	v_fma_f64 v[166:167], v[82:83], s[34:35], v[138:139]
	v_fma_f64 v[168:169], v[84:85], s[34:35], v[140:141]
	v_add_f64 v[124:125], v[150:151], v[124:125]
	v_fma_f64 v[150:151], v[84:85], s[18:19], v[142:143]
	v_add_f64 v[128:129], v[152:153], v[128:129]
	;; [unrolled: 2-line block ×3, first 2 shown]
	v_mul_f64 v[154:155], v[156:157], s[26:27]
	v_add_f64 v[116:117], v[146:147], v[116:117]
	v_add_f64 v[132:133], v[52:53], v[132:133]
	v_fma_f64 v[148:149], v[84:85], s[12:13], v[100:101]
	v_mul_f64 v[122:123], v[86:87], s[24:25]
	s_mov_b32 s51, 0x3fd71e95
	s_mov_b32 s50, s48
	v_mul_f64 v[176:177], v[156:157], s[10:11]
	v_mul_f64 v[178:179], v[156:157], s[54:55]
	v_fma_f64 v[172:173], v[82:83], s[6:7], v[126:127]
	v_mul_f64 v[164:165], v[86:87], s[36:37]
	v_add_f64 v[120:121], v[158:159], v[120:121]
	v_add_f64 v[158:159], v[28:29], v[44:45]
	v_fma_f64 v[180:181], v[82:83], s[50:51], v[160:161]
	v_mul_f64 v[146:147], v[70:71], s[24:25]
	v_add_f64 v[184:185], v[46:47], -v[30:31]
	v_add_f64 v[190:191], v[36:37], v[40:41]
	v_add_f64 v[124:125], v[168:169], v[124:125]
	v_fma_f64 v[168:169], v[82:83], s[4:5], v[162:163]
	v_add_f64 v[128:129], v[150:151], v[128:129]
	v_mul_f64 v[170:171], v[156:157], s[36:37]
	v_add_f64 v[130:131], v[152:153], v[130:131]
	v_fma_f64 v[152:153], v[136:137], s[44:45], v[154:155]
	v_add_f64 v[116:117], v[166:167], v[116:117]
	v_add_f64 v[132:133], v[48:49], v[132:133]
	v_add_f64 v[118:119], v[148:149], v[118:119]
	v_fma_f64 v[148:149], v[82:83], s[30:31], v[122:123]
	v_mul_f64 v[166:167], v[76:77], s[54:55]
	s_mov_b32 s53, 0x3fefdd0d
	v_fma_f64 v[198:199], v[136:137], s[6:7], v[176:177]
	s_mov_b32 s52, s18
	v_add_f64 v[204:205], v[42:43], -v[38:39]
	v_fma_f64 v[150:151], v[82:83], s[42:43], v[164:165]
	v_add_f64 v[120:121], v[172:173], v[120:121]
	v_mul_f64 v[172:173], v[158:159], s[36:37]
	v_mul_f64 v[70:71], v[70:71], s[54:55]
	v_fma_f64 v[182:183], v[68:69], s[22:23], v[146:147]
	v_fma_f64 v[112:113], v[68:69], s[38:39], v[112:113]
	v_mul_f64 v[212:213], v[190:191], s[14:15]
	v_add_f64 v[124:125], v[180:181], v[124:125]
	v_fma_f64 v[180:181], v[136:137], s[48:49], v[178:179]
	v_add_f64 v[128:129], v[168:169], v[128:129]
	v_fma_f64 v[186:187], v[136:137], s[38:39], v[170:171]
	v_mul_f64 v[188:189], v[158:159], s[54:55]
	v_fma_f64 v[146:147], v[68:69], s[30:31], v[146:147]
	v_add_f64 v[116:117], v[152:153], v[116:117]
	v_mul_f64 v[152:153], v[158:159], s[24:25]
	v_add_f64 v[132:133], v[44:45], v[132:133]
	v_add_f64 v[118:119], v[148:149], v[118:119]
	v_mul_f64 v[148:149], v[156:157], s[20:21]
	v_mul_f64 v[200:201], v[80:81], s[36:37]
	v_fma_f64 v[108:109], v[68:69], s[4:5], v[108:109]
	v_mul_f64 v[76:77], v[76:77], s[26:27]
	v_fma_f64 v[96:97], v[68:69], s[34:35], v[96:97]
	v_add_f64 v[130:131], v[150:151], v[130:131]
	v_fma_f64 v[150:151], v[72:73], s[48:49], v[166:167]
	v_fma_f64 v[210:211], v[184:185], s[42:43], v[172:173]
	v_fma_f64 v[114:115], v[72:73], s[6:7], v[114:115]
	v_add_f64 v[168:169], v[32:33], v[182:183]
	v_add_f64 v[112:113], v[32:33], v[112:113]
	v_mul_f64 v[202:203], v[158:159], s[26:27]
	v_add_f64 v[124:125], v[198:199], v[124:125]
	v_fma_f64 v[166:167], v[72:73], s[50:51], v[166:167]
	v_add_f64 v[128:129], v[180:181], v[128:129]
	v_fma_f64 v[98:99], v[68:69], s[52:53], v[98:99]
	v_fma_f64 v[74:75], v[68:69], s[46:47], v[74:75]
	v_add_f64 v[146:147], v[32:33], v[146:147]
	v_fma_f64 v[78:79], v[68:69], s[44:45], v[78:79]
	v_fma_f64 v[214:215], v[184:185], s[30:31], v[152:153]
	v_add_f64 v[132:133], v[40:41], v[132:133]
	v_add_f64 v[118:119], v[186:187], v[118:119]
	v_fma_f64 v[182:183], v[136:137], s[52:53], v[148:149]
	v_fma_f64 v[186:187], v[184:185], s[48:49], v[188:189]
	;; [unrolled: 1-line block ×3, first 2 shown]
	v_add_f64 v[108:109], v[32:33], v[108:109]
	v_mul_f64 v[80:81], v[80:81], s[10:11]
	v_fma_f64 v[104:105], v[72:73], s[42:43], v[104:105]
	v_add_f64 v[96:97], v[32:33], v[96:97]
	v_fma_f64 v[106:107], v[72:73], s[22:23], v[106:107]
	v_fma_f64 v[88:89], v[72:73], s[4:5], v[88:89]
	v_add_f64 v[150:151], v[150:151], v[168:169]
	v_fma_f64 v[168:169], v[84:85], s[38:39], v[200:201]
	v_add_f64 v[112:113], v[114:115], v[112:113]
	v_add_f64 v[124:125], v[210:211], v[124:125]
	v_fma_f64 v[210:211], v[204:205], s[4:5], v[212:213]
	v_fma_f64 v[200:201], v[84:85], s[42:43], v[200:201]
	v_add_f64 v[98:99], v[32:33], v[98:99]
	v_add_f64 v[74:75], v[32:33], v[74:75]
	;; [unrolled: 1-line block ×3, first 2 shown]
	v_fma_f64 v[90:91], v[72:73], s[52:53], v[90:91]
	v_add_f64 v[128:129], v[214:215], v[128:129]
	v_fma_f64 v[214:215], v[68:69], s[48:49], v[70:71]
	v_add_f64 v[132:133], v[8:9], v[132:133]
	v_add_f64 v[130:131], v[182:183], v[130:131]
	v_mul_f64 v[182:183], v[86:87], s[26:27]
	v_fma_f64 v[68:69], v[68:69], s[50:51], v[70:71]
	v_add_f64 v[116:117], v[186:187], v[116:117]
	v_fma_f64 v[186:187], v[184:185], s[16:17], v[202:203]
	v_add_f64 v[78:79], v[32:33], v[78:79]
	v_mul_f64 v[174:175], v[156:157], s[24:25]
	v_add_f64 v[108:109], v[110:111], v[108:109]
	v_fma_f64 v[110:111], v[84:85], s[50:51], v[144:145]
	v_mul_f64 v[86:87], v[86:87], s[20:21]
	v_add_f64 v[150:151], v[168:169], v[150:151]
	v_add_f64 v[96:97], v[104:105], v[96:97]
	v_fma_f64 v[104:105], v[84:85], s[16:17], v[134:135]
	v_add_f64 v[124:125], v[210:211], v[124:125]
	v_mul_f64 v[192:193], v[158:159], s[28:29]
	v_add_f64 v[98:99], v[106:107], v[98:99]
	v_fma_f64 v[106:107], v[84:85], s[40:41], v[140:141]
	v_add_f64 v[146:147], v[200:201], v[146:147]
	v_add_f64 v[74:75], v[88:89], v[74:75]
	v_fma_f64 v[88:89], v[84:85], s[30:31], v[102:103]
	v_add_f64 v[210:211], v[32:33], v[214:215]
	v_fma_f64 v[214:215], v[72:73], s[16:17], v[76:77]
	;; [unrolled: 2-line block ×3, first 2 shown]
	v_fma_f64 v[72:73], v[72:73], s[44:45], v[76:77]
	v_add_f64 v[32:33], v[32:33], v[68:69]
	v_fma_f64 v[132:133], v[84:85], s[52:53], v[142:143]
	v_fma_f64 v[76:77], v[84:85], s[6:7], v[80:81]
	v_add_f64 v[130:131], v[186:187], v[130:131]
	v_mul_f64 v[186:187], v[156:157], s[14:15]
	v_add_f64 v[78:79], v[90:91], v[78:79]
	v_fma_f64 v[90:91], v[84:85], s[4:5], v[100:101]
	v_fma_f64 v[80:81], v[84:85], s[46:47], v[80:81]
	v_mul_f64 v[194:195], v[158:159], s[20:21]
	v_fma_f64 v[196:197], v[136:137], s[30:31], v[174:175]
	v_fma_f64 v[100:101], v[82:83], s[12:13], v[162:163]
	v_add_f64 v[108:109], v[110:111], v[108:109]
	v_fma_f64 v[110:111], v[82:83], s[38:39], v[164:165]
	v_add_f64 v[96:97], v[104:105], v[96:97]
	v_fma_f64 v[104:105], v[82:83], s[46:47], v[126:127]
	v_mul_f64 v[126:127], v[156:157], s[28:29]
	v_add_f64 v[98:99], v[106:107], v[98:99]
	v_fma_f64 v[106:107], v[82:83], s[48:49], v[160:161]
	v_add_f64 v[142:143], v[214:215], v[210:211]
	v_add_f64 v[114:115], v[36:37], v[114:115]
	;; [unrolled: 1-line block ×3, first 2 shown]
	v_fma_f64 v[168:169], v[82:83], s[44:45], v[182:183]
	v_add_f64 v[32:33], v[72:73], v[32:33]
	v_add_f64 v[102:103], v[132:133], v[112:113]
	v_fma_f64 v[112:113], v[82:83], s[18:19], v[86:87]
	v_add_f64 v[74:75], v[88:89], v[74:75]
	v_fma_f64 v[140:141], v[136:137], s[12:13], v[186:187]
	v_fma_f64 v[88:89], v[82:83], s[40:41], v[138:139]
	v_add_f64 v[78:79], v[90:91], v[78:79]
	v_fma_f64 v[90:91], v[82:83], s[22:23], v[122:123]
	;; [unrolled: 3-line block ×3, first 2 shown]
	v_mul_f64 v[208:209], v[190:191], s[10:11]
	v_fma_f64 v[198:199], v[184:185], s[52:53], v[194:195]
	v_mul_f64 v[180:181], v[190:191], s[54:55]
	v_fma_f64 v[150:151], v[136:137], s[4:5], v[186:187]
	v_add_f64 v[108:109], v[110:111], v[108:109]
	v_fma_f64 v[86:87], v[136:137], s[50:51], v[178:179]
	v_add_f64 v[96:97], v[104:105], v[96:97]
	v_add_f64 v[76:77], v[76:77], v[142:143]
	;; [unrolled: 1-line block ×3, first 2 shown]
	v_fma_f64 v[104:105], v[136:137], s[40:41], v[126:127]
	v_add_f64 v[134:135], v[168:169], v[146:147]
	v_add_f64 v[32:33], v[80:81], v[32:33]
	v_add_f64 v[100:101], v[100:101], v[102:103]
	v_mul_f64 v[102:103], v[158:159], s[10:11]
	v_mul_f64 v[122:123], v[158:159], s[14:15]
	v_add_f64 v[98:99], v[106:107], v[98:99]
	v_fma_f64 v[144:145], v[136:137], s[46:47], v[176:177]
	v_add_f64 v[74:75], v[88:89], v[74:75]
	v_fma_f64 v[146:147], v[136:137], s[16:17], v[154:155]
	v_add_f64 v[78:79], v[90:91], v[78:79]
	v_fma_f64 v[90:91], v[136:137], s[42:43], v[170:171]
	v_fma_f64 v[126:127], v[136:137], s[34:35], v[126:127]
	v_mul_f64 v[206:207], v[190:191], s[20:21]
	v_add_f64 v[68:69], v[4:5], v[8:9]
	v_add_f64 v[118:119], v[196:197], v[118:119]
	v_fma_f64 v[196:197], v[204:205], s[46:47], v[208:209]
	v_add_f64 v[120:121], v[198:199], v[120:121]
	v_fma_f64 v[198:199], v[204:205], s[48:49], v[180:181]
	v_mul_f64 v[218:219], v[190:191], s[26:27]
	v_add_f64 v[76:77], v[112:113], v[76:77]
	v_fma_f64 v[112:113], v[136:137], s[18:19], v[148:149]
	v_add_f64 v[114:115], v[24:25], v[114:115]
	v_add_f64 v[134:135], v[140:141], v[134:135]
	v_fma_f64 v[140:141], v[136:137], s[22:23], v[174:175]
	v_add_f64 v[32:33], v[82:83], v[32:33]
	v_mul_f64 v[166:167], v[190:191], s[24:25]
	v_add_f64 v[70:71], v[150:151], v[70:71]
	v_fma_f64 v[148:149], v[184:185], s[6:7], v[102:103]
	v_mul_f64 v[136:137], v[190:191], s[28:29]
	v_fma_f64 v[102:103], v[184:185], s[46:47], v[102:103]
	v_add_f64 v[86:87], v[86:87], v[100:101]
	v_fma_f64 v[150:151], v[184:185], s[22:23], v[152:153]
	v_mul_f64 v[152:153], v[190:191], s[36:37]
	v_add_f64 v[98:99], v[144:145], v[98:99]
	v_fma_f64 v[144:145], v[184:185], s[38:39], v[172:173]
	v_add_f64 v[74:75], v[146:147], v[74:75]
	v_fma_f64 v[146:147], v[184:185], s[50:51], v[188:189]
	;; [unrolled: 2-line block ×3, first 2 shown]
	v_fma_f64 v[216:217], v[204:205], s[18:19], v[206:207]
	v_add_f64 v[84:85], v[10:11], -v[6:7]
	v_add_f64 v[76:77], v[104:105], v[76:77]
	v_add_f64 v[108:109], v[112:113], v[108:109]
	v_fma_f64 v[112:113], v[184:185], s[44:45], v[202:203]
	v_fma_f64 v[104:105], v[184:185], s[12:13], v[122:123]
	v_add_f64 v[114:115], v[20:21], v[114:115]
	v_add_f64 v[96:97], v[140:141], v[96:97]
	v_fma_f64 v[140:141], v[184:185], s[18:19], v[194:195]
	v_fma_f64 v[122:123], v[184:185], s[4:5], v[122:123]
	v_add_f64 v[32:33], v[126:127], v[32:33]
	v_mul_f64 v[72:73], v[68:69], s[36:37]
	v_mul_f64 v[132:133], v[68:69], s[54:55]
	;; [unrolled: 1-line block ×4, first 2 shown]
	v_add_f64 v[118:119], v[196:197], v[118:119]
	v_add_f64 v[120:121], v[198:199], v[120:121]
	v_fma_f64 v[196:197], v[204:205], s[44:45], v[218:219]
	v_fma_f64 v[198:199], v[204:205], s[30:31], v[166:167]
	v_mul_f64 v[82:83], v[68:69], s[28:29]
	v_mul_f64 v[100:101], v[68:69], s[10:11]
	v_add_f64 v[70:71], v[148:149], v[70:71]
	v_fma_f64 v[148:149], v[204:205], s[34:35], v[136:137]
	v_mul_f64 v[126:127], v[68:69], s[20:21]
	v_add_f64 v[102:103], v[102:103], v[134:135]
	v_fma_f64 v[134:135], v[204:205], s[40:41], v[136:137]
	v_add_f64 v[86:87], v[150:151], v[86:87]
	v_fma_f64 v[136:137], v[204:205], s[16:17], v[218:219]
	;; [unrolled: 2-line block ×4, first 2 shown]
	v_mul_f64 v[68:69], v[68:69], s[24:25]
	v_add_f64 v[114:115], v[16:17], v[114:115]
	v_add_f64 v[96:97], v[140:141], v[96:97]
	v_fma_f64 v[140:141], v[204:205], s[50:51], v[180:181]
	v_add_f64 v[98:99], v[144:145], v[98:99]
	v_fma_f64 v[144:145], v[204:205], s[12:13], v[212:213]
	;; [unrolled: 2-line block ×4, first 2 shown]
	v_fma_f64 v[152:153], v[204:205], s[38:39], v[152:153]
	v_add_f64 v[32:33], v[122:123], v[32:33]
	v_add_f64 v[116:117], v[216:217], v[116:117]
	v_fma_f64 v[80:81], v[84:85], s[42:43], v[72:73]
	v_fma_f64 v[110:111], v[84:85], s[50:51], v[132:133]
	;; [unrolled: 1-line block ×4, first 2 shown]
	v_add_f64 v[128:129], v[196:197], v[128:129]
	v_add_f64 v[130:131], v[198:199], v[130:131]
	v_fma_f64 v[150:151], v[84:85], s[40:41], v[82:83]
	v_fma_f64 v[122:123], v[84:85], s[46:47], v[100:101]
	v_add_f64 v[70:71], v[148:149], v[70:71]
	v_fma_f64 v[148:149], v[84:85], s[18:19], v[126:127]
	v_add_f64 v[102:103], v[134:135], v[102:103]
	;; [unrolled: 2-line block ×6, first 2 shown]
	v_add_f64 v[96:97], v[140:141], v[96:97]
	v_fma_f64 v[114:115], v[84:85], s[4:5], v[142:143]
	v_add_f64 v[98:99], v[144:145], v[98:99]
	v_fma_f64 v[134:135], v[84:85], s[16:17], v[138:139]
	v_add_f64 v[74:75], v[146:147], v[74:75]
	v_fma_f64 v[72:73], v[84:85], s[38:39], v[72:73]
	v_add_f64 v[78:79], v[90:91], v[78:79]
	v_fma_f64 v[90:91], v[84:85], s[48:49], v[132:133]
	v_fma_f64 v[68:69], v[84:85], s[22:23], v[68:69]
	v_add_f64 v[32:33], v[152:153], v[32:33]
	v_add_f64 v[80:81], v[80:81], v[116:117]
	;; [unrolled: 1-line block ×18, first 2 shown]
	v_mul_u32_u24_e32 v68, 0x88, v92
	v_add3_u32 v68, 0, v68, v93
	ds_write2_b64 v68, v[84:85], v[80:81] offset0:2 offset1:3
	ds_write2_b64 v68, v[88:89], v[106:107] offset0:4 offset1:5
	;; [unrolled: 1-line block ×5, first 2 shown]
	ds_write2_b64 v68, v[100:101], v[76:77] offset1:1
	ds_write2_b64 v68, v[96:97], v[98:99] offset0:12 offset1:13
	ds_write2_b64 v68, v[72:73], v[74:75] offset0:14 offset1:15
	ds_write_b64 v68, v[32:33] offset:128
.LBB0_12:
	s_or_b32 exec_lo, exec_lo, s1
	s_waitcnt vmcnt(16)
	v_lshlrev_b32_e32 v32, 3, v92
	s_waitcnt vmcnt(0) lgkmcnt(0)
	s_barrier
	buffer_gl0_inv
	v_add_nc_u32_e32 v100, 0, v32
	v_add3_u32 v99, 0, v93, v32
	v_add_nc_u32_e32 v98, v100, v93
	ds_read2_b64 v[68:71], v98 offset0:17 offset1:34
	ds_read2_b64 v[80:83], v98 offset0:51 offset1:68
	;; [unrolled: 1-line block ×6, first 2 shown]
	ds_read_b64 v[32:33], v99
	ds_read_b64 v[96:97], v98 offset:1768
	s_waitcnt lgkmcnt(0)
	s_barrier
	buffer_gl0_inv
	s_and_saveexec_b32 s33, s0
	s_cbranch_execz .LBB0_14
; %bb.13:
	v_add_f64 v[101:102], v[66:67], v[34:35]
	v_add_f64 v[0:1], v[64:65], -v[0:1]
	v_add_f64 v[16:17], v[56:57], -v[16:17]
	;; [unrolled: 1-line block ×3, first 2 shown]
	v_add_f64 v[60:61], v[18:19], v[58:59]
	v_add_f64 v[20:21], v[52:53], -v[20:21]
	v_add_f64 v[52:53], v[26:27], v[50:51]
	v_add_f64 v[24:25], v[48:49], -v[24:25]
	;; [unrolled: 2-line block ×3, first 2 shown]
	v_add_f64 v[44:45], v[38:39], v[42:43]
	s_mov_b32 s24, 0x5d8e7cdc
	s_mov_b32 s42, 0x2a9d6da3
	;; [unrolled: 1-line block ×11, first 2 shown]
	v_add_f64 v[64:65], v[62:63], v[101:102]
	s_mov_b32 s26, 0x4363dd80
	s_mov_b32 s23, 0xbfe9895b
	;; [unrolled: 1-line block ×3, first 2 shown]
	v_add_f64 v[66:67], v[2:3], v[66:67]
	s_mov_b32 s30, 0xacd6c6b4
	v_add_f64 v[36:37], v[40:41], -v[36:37]
	v_mul_f64 v[40:41], v[0:1], s[24:25]
	v_mul_f64 v[101:102], v[0:1], s[28:29]
	;; [unrolled: 1-line block ×3, first 2 shown]
	s_mov_b32 s31, 0xbfc7851a
	v_mul_f64 v[105:106], v[0:1], s[22:23]
	v_mul_f64 v[107:108], v[0:1], s[26:27]
	s_mov_b32 s0, 0x370991
	s_mov_b32 s4, 0x75d4884
	;; [unrolled: 1-line block ×9, first 2 shown]
	v_add_f64 v[56:57], v[58:59], v[64:65]
	v_add_f64 v[58:59], v[22:23], v[54:55]
	v_mul_f64 v[64:65], v[0:1], s[44:45]
	s_mov_b32 s13, 0xbfd183b1
	s_mov_b32 s14, 0x6ed5f1bb
	;; [unrolled: 1-line block ×12, first 2 shown]
	v_add_f64 v[62:63], v[14:15], v[62:63]
	v_mul_f64 v[109:110], v[12:13], s[42:43]
	v_mul_f64 v[111:112], v[12:13], s[28:29]
	v_mul_f64 v[113:114], v[12:13], s[22:23]
	v_mul_f64 v[115:116], v[12:13], s[30:31]
	v_mul_f64 v[117:118], v[12:13], s[48:49]
	v_fma_f64 v[179:180], v[66:67], s[0:1], -v[40:41]
	v_add_f64 v[54:55], v[54:55], v[56:57]
	v_mul_f64 v[56:57], v[0:1], s[42:43]
	v_mul_f64 v[0:1], v[0:1], s[30:31]
	v_fma_f64 v[40:41], v[66:67], s[0:1], v[40:41]
	v_fma_f64 v[183:184], v[66:67], s[6:7], -v[64:65]
	v_fma_f64 v[64:65], v[66:67], s[6:7], v[64:65]
	v_fma_f64 v[185:186], v[66:67], s[10:11], -v[101:102]
	;; [unrolled: 2-line block ×3, first 2 shown]
	s_mov_b32 s21, 0xbfef7484
	s_mov_b32 s37, 0x3fd71e95
	;; [unrolled: 1-line block ×3, first 2 shown]
	v_mul_f64 v[119:120], v[12:13], s[50:51]
	v_mul_f64 v[121:122], v[12:13], s[34:35]
	v_fma_f64 v[189:190], v[66:67], s[14:15], -v[105:106]
	v_fma_f64 v[105:106], v[66:67], s[14:15], v[105:106]
	v_fma_f64 v[191:192], v[66:67], s[16:17], -v[107:108]
	v_fma_f64 v[107:108], v[66:67], s[16:17], v[107:108]
	v_mul_f64 v[12:13], v[12:13], s[36:37]
	s_mov_b32 s53, 0x3fc7851a
	s_mov_b32 s39, 0x3fe58eea
	;; [unrolled: 1-line block ×3, first 2 shown]
	v_add_f64 v[50:51], v[50:51], v[54:55]
	v_fma_f64 v[181:182], v[66:67], s[4:5], -v[56:57]
	v_fma_f64 v[56:57], v[66:67], s[4:5], v[56:57]
	s_mov_b32 s38, s42
	v_mul_f64 v[123:124], v[16:17], s[44:45]
	v_mul_f64 v[125:126], v[16:17], s[22:23]
	;; [unrolled: 1-line block ×6, first 2 shown]
	v_fma_f64 v[103:104], v[66:67], s[12:13], v[103:104]
	v_fma_f64 v[193:194], v[62:63], s[10:11], -v[111:112]
	v_fma_f64 v[111:112], v[62:63], s[10:11], v[111:112]
	v_fma_f64 v[195:196], v[62:63], s[14:15], -v[113:114]
	;; [unrolled: 2-line block ×4, first 2 shown]
	v_add_f64 v[179:180], v[34:35], v[179:180]
	v_add_f64 v[40:41], v[34:35], v[40:41]
	;; [unrolled: 1-line block ×9, first 2 shown]
	v_mul_f64 v[54:55], v[16:17], s[28:29]
	v_fma_f64 v[201:202], v[62:63], s[12:13], -v[119:120]
	v_fma_f64 v[119:120], v[62:63], s[12:13], v[119:120]
	v_fma_f64 v[203:204], v[62:63], s[6:7], -v[121:122]
	v_add_f64 v[105:106], v[34:35], v[105:106]
	v_add_f64 v[191:192], v[34:35], v[191:192]
	v_fma_f64 v[121:122], v[62:63], s[6:7], v[121:122]
	v_add_f64 v[107:108], v[34:35], v[107:108]
	v_mul_f64 v[133:134], v[16:17], s[24:25]
	v_mul_f64 v[16:17], v[16:17], s[26:27]
	v_fma_f64 v[205:206], v[62:63], s[0:1], -v[12:13]
	v_fma_f64 v[12:13], v[62:63], s[0:1], v[12:13]
	s_mov_b32 s47, 0x3fe9895b
	s_mov_b32 s46, s22
	;; [unrolled: 1-line block ×4, first 2 shown]
	v_mul_f64 v[135:136], v[20:21], s[28:29]
	v_add_f64 v[42:43], v[42:43], v[46:47]
	v_fma_f64 v[46:47], v[66:67], s[20:21], -v[0:1]
	v_fma_f64 v[0:1], v[66:67], s[20:21], v[0:1]
	v_fma_f64 v[66:67], v[62:63], s[4:5], -v[109:110]
	v_fma_f64 v[109:110], v[62:63], s[4:5], v[109:110]
	v_mul_f64 v[137:138], v[20:21], s[30:31]
	v_mul_f64 v[139:140], v[20:21], s[50:51]
	;; [unrolled: 1-line block ×4, first 2 shown]
	v_fma_f64 v[117:118], v[62:63], s[16:17], v[117:118]
	v_fma_f64 v[62:63], v[60:61], s[6:7], -v[123:124]
	v_fma_f64 v[123:124], v[60:61], s[6:7], v[123:124]
	v_fma_f64 v[207:208], v[60:61], s[14:15], -v[125:126]
	;; [unrolled: 2-line block ×5, first 2 shown]
	v_add_f64 v[185:186], v[34:35], v[185:186]
	v_fma_f64 v[243:244], v[52:53], s[0:1], -v[161:162]
	v_add_f64 v[103:104], v[34:35], v[103:104]
	v_add_f64 v[42:43], v[10:11], v[42:43]
	;; [unrolled: 1-line block ×12, first 2 shown]
	v_mul_f64 v[147:148], v[20:21], s[46:47]
	v_fma_f64 v[217:218], v[60:61], s[10:11], -v[54:55]
	v_add_f64 v[105:106], v[119:120], v[105:106]
	v_add_f64 v[119:120], v[203:204], v[191:192]
	v_mul_f64 v[145:146], v[20:21], s[26:27]
	v_mul_f64 v[20:21], v[20:21], s[38:39]
	;; [unrolled: 1-line block ×7, first 2 shown]
	v_add_f64 v[42:43], v[6:7], v[42:43]
	v_mul_f64 v[159:160], v[24:25], s[40:41]
	v_mul_f64 v[24:25], v[24:25], s[22:23]
	v_fma_f64 v[54:55], v[60:61], s[10:11], v[54:55]
	v_add_f64 v[107:108], v[121:122], v[107:108]
	v_fma_f64 v[219:220], v[60:61], s[16:17], -v[16:17]
	v_fma_f64 v[16:17], v[60:61], s[16:17], v[16:17]
	v_add_f64 v[0:1], v[12:13], v[0:1]
	v_fma_f64 v[131:132], v[60:61], s[4:5], v[131:132]
	v_fma_f64 v[215:216], v[60:61], s[0:1], -v[133:134]
	v_fma_f64 v[133:134], v[60:61], s[0:1], v[133:134]
	v_fma_f64 v[60:61], v[58:59], s[10:11], -v[135:136]
	;; [unrolled: 2-line block ×6, first 2 shown]
	v_add_f64 v[12:13], v[62:63], v[34:35]
	v_add_f64 v[34:35], v[123:124], v[40:41]
	;; [unrolled: 1-line block ×8, first 2 shown]
	v_fma_f64 v[231:232], v[58:59], s[14:15], -v[147:148]
	v_add_f64 v[103:104], v[117:118], v[103:104]
	v_add_f64 v[46:47], v[205:206], v[46:47]
	;; [unrolled: 1-line block ×3, first 2 shown]
	v_fma_f64 v[143:144], v[58:59], s[6:7], v[143:144]
	v_fma_f64 v[229:230], v[58:59], s[16:17], -v[145:146]
	v_fma_f64 v[145:146], v[58:59], s[16:17], v[145:146]
	v_fma_f64 v[147:148], v[58:59], s[14:15], v[147:148]
	v_fma_f64 v[233:234], v[58:59], s[4:5], -v[20:21]
	v_fma_f64 v[20:21], v[58:59], s[4:5], v[20:21]
	v_fma_f64 v[58:59], v[52:53], s[12:13], -v[149:150]
	;; [unrolled: 2-line block ×4, first 2 shown]
	v_fma_f64 v[153:154], v[52:53], s[4:5], v[153:154]
	v_add_f64 v[30:31], v[30:31], v[38:39]
	v_fma_f64 v[38:39], v[52:53], s[0:1], v[161:162]
	v_add_f64 v[161:162], v[199:200], v[187:188]
	v_fma_f64 v[239:240], v[52:53], s[6:7], -v[155:156]
	v_fma_f64 v[155:156], v[52:53], s[6:7], v[155:156]
	v_fma_f64 v[42:43], v[52:53], s[20:21], -v[157:158]
	v_fma_f64 v[157:158], v[52:53], s[20:21], v[157:158]
	;; [unrolled: 2-line block ×4, first 2 shown]
	v_add_f64 v[52:53], v[197:198], v[185:186]
	v_add_f64 v[54:55], v[54:55], v[107:108]
	;; [unrolled: 1-line block ×4, first 2 shown]
	v_mul_f64 v[163:164], v[28:29], s[22:23]
	v_mul_f64 v[165:166], v[28:29], s[50:51]
	;; [unrolled: 1-line block ×7, first 2 shown]
	v_add_f64 v[26:27], v[26:27], v[30:31]
	v_mul_f64 v[28:29], v[28:29], s[34:35]
	v_add_f64 v[125:126], v[213:214], v[161:162]
	v_add_f64 v[105:106], v[133:134], v[105:106]
	;; [unrolled: 1-line block ×16, first 2 shown]
	v_fma_f64 v[113:114], v[48:49], s[14:15], -v[163:164]
	v_fma_f64 v[115:116], v[48:49], s[14:15], v[163:164]
	v_fma_f64 v[30:31], v[48:49], s[12:13], -v[165:166]
	v_fma_f64 v[66:67], v[48:49], s[12:13], v[165:166]
	v_add_f64 v[22:23], v[22:23], v[26:27]
	v_fma_f64 v[109:110], v[48:49], s[0:1], -v[167:168]
	v_add_f64 v[125:126], v[227:228], v[125:126]
	v_fma_f64 v[121:122], v[48:49], s[0:1], v[167:168]
	v_fma_f64 v[123:124], v[48:49], s[16:17], -v[50:51]
	v_fma_f64 v[26:27], v[48:49], s[16:17], v[50:51]
	v_fma_f64 v[50:51], v[48:49], s[10:11], -v[169:170]
	;; [unrolled: 2-line block ×3, first 2 shown]
	v_fma_f64 v[107:108], v[48:49], s[4:5], v[171:172]
	v_add_f64 v[105:106], v[145:146], v[105:106]
	v_add_f64 v[12:13], v[58:59], v[12:13]
	;; [unrolled: 1-line block ×5, first 2 shown]
	v_fma_f64 v[56:57], v[48:49], s[20:21], v[173:174]
	v_add_f64 v[58:59], v[153:154], v[60:61]
	v_fma_f64 v[60:61], v[48:49], s[6:7], -v[28:29]
	v_fma_f64 v[28:29], v[48:49], s[6:7], v[28:29]
	v_mul_f64 v[175:176], v[36:37], s[26:27]
	v_mul_f64 v[177:178], v[36:37], s[34:35]
	v_add_f64 v[103:104], v[143:144], v[103:104]
	v_add_f64 v[18:19], v[18:19], v[22:23]
	v_fma_f64 v[22:23], v[48:49], s[20:21], -v[173:174]
	v_add_f64 v[48:49], v[155:156], v[101:102]
	v_add_f64 v[42:43], v[42:43], v[125:126]
	;; [unrolled: 1-line block ×11, first 2 shown]
	v_mul_f64 v[54:55], v[36:37], s[46:47]
	v_add_f64 v[30:31], v[109:110], v[40:41]
	v_add_f64 v[4:5], v[8:9], -v[4:5]
	v_add_f64 v[40:41], v[121:122], v[58:59]
	v_mul_f64 v[58:59], v[36:37], s[24:25]
	v_add_f64 v[12:13], v[113:114], v[12:13]
	v_fma_f64 v[101:102], v[44:45], s[16:17], -v[175:176]
	v_add_f64 v[24:25], v[66:67], v[34:35]
	v_add_f64 v[103:104], v[157:158], v[103:104]
	;; [unrolled: 1-line block ×3, first 2 shown]
	v_mul_f64 v[18:19], v[36:37], s[28:29]
	v_add_f64 v[26:27], v[26:27], v[48:49]
	v_mul_f64 v[48:49], v[36:37], s[30:31]
	v_add_f64 v[42:43], v[50:51], v[42:43]
	v_mul_f64 v[50:51], v[36:37], s[38:39]
	v_mul_f64 v[36:37], v[36:37], s[18:19]
	v_add_f64 v[46:47], v[111:112], v[46:47]
	v_add_f64 v[16:17], v[115:116], v[16:17]
	v_fma_f64 v[34:35], v[44:45], s[16:17], v[175:176]
	v_add_f64 v[8:9], v[22:23], v[119:120]
	v_fma_f64 v[22:23], v[44:45], s[6:7], -v[177:178]
	v_add_f64 v[52:53], v[239:240], v[52:53]
	v_add_f64 v[38:39], v[56:57], v[38:39]
	v_fma_f64 v[56:57], v[44:45], s[6:7], v[177:178]
	v_add_f64 v[117:118], v[241:242], v[117:118]
	v_add_f64 v[0:1], v[28:29], v[0:1]
	;; [unrolled: 1-line block ×4, first 2 shown]
	v_mul_f64 v[10:11], v[4:5], s[30:31]
	v_add_f64 v[12:13], v[101:102], v[12:13]
	v_add_f64 v[62:63], v[62:63], v[103:104]
	v_mul_f64 v[107:108], v[4:5], s[38:39]
	v_fma_f64 v[28:29], v[44:45], s[10:11], -v[18:19]
	v_fma_f64 v[18:19], v[44:45], s[10:11], v[18:19]
	v_fma_f64 v[101:102], v[44:45], s[20:21], -v[48:49]
	v_fma_f64 v[48:49], v[44:45], s[20:21], v[48:49]
	v_fma_f64 v[103:104], v[44:45], s[4:5], -v[50:51]
	v_fma_f64 v[105:106], v[44:45], s[12:13], -v[36:37]
	v_fma_f64 v[36:37], v[44:45], s[12:13], v[36:37]
	v_add_f64 v[46:47], v[60:61], v[46:47]
	v_add_f64 v[16:17], v[34:35], v[16:17]
	v_fma_f64 v[34:35], v[44:45], s[14:15], -v[54:55]
	v_fma_f64 v[54:55], v[44:45], s[14:15], v[54:55]
	v_fma_f64 v[60:61], v[44:45], s[0:1], -v[58:59]
	v_fma_f64 v[58:59], v[44:45], s[0:1], v[58:59]
	v_fma_f64 v[50:51], v[44:45], s[4:5], v[50:51]
	v_mul_f64 v[44:45], v[4:5], s[36:37]
	v_add_f64 v[20:21], v[22:23], v[20:21]
	v_mul_f64 v[22:23], v[4:5], s[26:27]
	v_add_f64 v[52:53], v[123:124], v[52:53]
	v_add_f64 v[24:25], v[56:57], v[24:25]
	v_mul_f64 v[56:57], v[4:5], s[22:23]
	v_add_f64 v[64:65], v[64:65], v[117:118]
	v_mul_f64 v[109:110], v[4:5], s[34:35]
	;; [unrolled: 2-line block ×3, first 2 shown]
	v_mul_f64 v[4:5], v[4:5], s[40:41]
	v_add_f64 v[18:19], v[18:19], v[40:41]
	v_add_f64 v[8:9], v[103:104], v[8:9]
	;; [unrolled: 1-line block ×4, first 2 shown]
	v_fma_f64 v[36:37], v[6:7], s[20:21], -v[10:11]
	v_add_f64 v[46:47], v[105:106], v[46:47]
	v_add_f64 v[2:3], v[2:3], v[14:15]
	;; [unrolled: 1-line block ×6, first 2 shown]
	v_fma_f64 v[50:51], v[6:7], s[0:1], -v[44:45]
	v_fma_f64 v[44:45], v[6:7], s[0:1], v[44:45]
	v_fma_f64 v[54:55], v[6:7], s[16:17], -v[22:23]
	v_add_f64 v[34:35], v[34:35], v[52:53]
	v_fma_f64 v[58:59], v[6:7], s[4:5], -v[107:108]
	v_fma_f64 v[62:63], v[6:7], s[14:15], -v[56:57]
	v_add_f64 v[52:53], v[101:102], v[64:65]
	v_fma_f64 v[64:65], v[6:7], s[6:7], -v[109:110]
	v_fma_f64 v[66:67], v[6:7], s[6:7], v[109:110]
	v_fma_f64 v[101:102], v[6:7], s[12:13], -v[30:31]
	v_fma_f64 v[103:104], v[6:7], s[10:11], -v[4:5]
	v_fma_f64 v[4:5], v[6:7], s[10:11], v[4:5]
	v_fma_f64 v[30:31], v[6:7], s[12:13], v[30:31]
	;; [unrolled: 1-line block ×6, first 2 shown]
	v_add_f64 v[10:11], v[36:37], v[12:13]
	v_add_f64 v[12:13], v[50:51], v[20:21]
	;; [unrolled: 1-line block ×16, first 2 shown]
	v_lshlrev_b32_e32 v16, 7, v92
	v_add3_u32 v16, v100, v16, v93
	ds_write2_b64 v16, v[2:3], v[10:11] offset1:1
	ds_write2_b64 v16, v[12:13], v[20:21] offset0:2 offset1:3
	ds_write2_b64 v16, v[24:25], v[28:29] offset0:4 offset1:5
	;; [unrolled: 1-line block ×7, first 2 shown]
	ds_write_b64 v16, v[6:7] offset:128
.LBB0_14:
	s_or_b32 exec_lo, exec_lo, s33
	v_mul_u32_u24_e32 v0, 6, v92
	s_waitcnt lgkmcnt(0)
	s_barrier
	buffer_gl0_inv
	s_mov_b32 s16, 0x37e14327
	v_lshlrev_b32_e32 v20, 4, v0
	s_mov_b32 s0, 0x36b3c0b5
	s_mov_b32 s20, 0xe976ee23
	;; [unrolled: 1-line block ×4, first 2 shown]
	s_clause 0x5
	global_load_dwordx4 v[0:3], v20, s[8:9]
	global_load_dwordx4 v[4:7], v20, s[8:9] offset:16
	global_load_dwordx4 v[8:11], v20, s[8:9] offset:32
	;; [unrolled: 1-line block ×5, first 2 shown]
	ds_read2_b64 v[24:27], v98 offset0:17 offset1:34
	ds_read2_b64 v[28:31], v98 offset0:51 offset1:68
	;; [unrolled: 1-line block ×6, first 2 shown]
	ds_read_b64 v[50:51], v99
	ds_read_b64 v[52:53], v98 offset:1768
	s_mov_b32 s21, 0x3fe11646
	s_mov_b32 s4, 0x429ad128
	;; [unrolled: 1-line block ×15, first 2 shown]
	s_waitcnt vmcnt(0) lgkmcnt(0)
	s_barrier
	buffer_gl0_inv
	v_mul_f64 v[54:55], v[26:27], v[2:3]
	v_mul_f64 v[56:57], v[70:71], v[2:3]
	;; [unrolled: 1-line block ×24, first 2 shown]
	v_fma_f64 v[54:55], v[70:71], v[0:1], v[54:55]
	v_fma_f64 v[26:27], v[26:27], v[0:1], -v[56:57]
	v_fma_f64 v[56:57], v[82:83], v[4:5], v[58:59]
	v_fma_f64 v[30:31], v[30:31], v[4:5], -v[60:61]
	v_fma_f64 v[58:59], v[90:91], v[12:13], v[66:67]
	v_fma_f64 v[60:61], v[74:75], v[16:17], v[102:103]
	v_fma_f64 v[36:37], v[36:37], v[8:9], -v[64:65]
	v_fma_f64 v[64:65], v[78:79], v[20:21], v[106:107]
	v_fma_f64 v[66:67], v[80:81], v[0:1], v[110:111]
	;; [unrolled: 1-line block ×5, first 2 shown]
	v_fma_f64 v[48:49], v[48:49], v[12:13], -v[100:101]
	v_fma_f64 v[44:45], v[44:45], v[16:17], -v[104:105]
	v_fma_f64 v[62:63], v[86:87], v[8:9], v[62:63]
	v_fma_f64 v[40:41], v[40:41], v[20:21], -v[108:109]
	v_fma_f64 v[0:1], v[28:29], v[0:1], -v[2:3]
	;; [unrolled: 1-line block ×4, first 2 shown]
	v_fma_f64 v[12:13], v[76:77], v[8:9], v[118:119]
	v_fma_f64 v[8:9], v[38:39], v[8:9], -v[10:11]
	v_fma_f64 v[6:7], v[46:47], v[16:17], -v[18:19]
	v_fma_f64 v[10:11], v[72:73], v[20:21], v[120:121]
	v_fma_f64 v[14:15], v[42:43], v[20:21], -v[22:23]
	v_add_f64 v[16:17], v[54:55], v[58:59]
	v_add_f64 v[20:21], v[56:57], v[60:61]
	v_add_f64 v[34:35], v[56:57], -v[60:61]
	v_add_f64 v[28:29], v[54:55], -v[58:59]
	v_add_f64 v[46:47], v[66:67], v[74:75]
	v_add_f64 v[52:53], v[70:71], v[78:79]
	;; [unrolled: 1-line block ×6, first 2 shown]
	v_add_f64 v[30:31], v[30:31], -v[44:45]
	v_add_f64 v[44:45], v[64:65], -v[62:63]
	;; [unrolled: 1-line block ×3, first 2 shown]
	v_add_f64 v[40:41], v[0:1], v[2:3]
	v_add_f64 v[0:1], v[0:1], -v[2:3]
	v_add_f64 v[2:3], v[4:5], v[6:7]
	v_add_f64 v[4:5], v[4:5], -v[6:7]
	;; [unrolled: 2-line block ×3, first 2 shown]
	v_add_f64 v[26:27], v[26:27], -v[48:49]
	v_add_f64 v[56:57], v[8:9], v[14:15]
	v_add_f64 v[12:13], v[20:21], v[16:17]
	v_add_f64 v[8:9], v[14:15], -v[8:9]
	v_add_f64 v[54:55], v[70:71], -v[78:79]
	;; [unrolled: 1-line block ×4, first 2 shown]
	v_add_f64 v[64:65], v[52:53], v[46:47]
	v_add_f64 v[76:77], v[52:53], -v[46:47]
	v_add_f64 v[14:15], v[22:23], v[18:19]
	v_add_f64 v[60:61], v[22:23], -v[18:19]
	v_add_f64 v[16:17], v[16:17], -v[38:39]
	;; [unrolled: 1-line block ×5, first 2 shown]
	v_add_f64 v[62:63], v[44:45], v[34:35]
	v_add_f64 v[66:67], v[36:37], v[30:31]
	v_add_f64 v[72:73], v[36:37], -v[30:31]
	v_add_f64 v[74:75], v[2:3], v[40:41]
	v_add_f64 v[46:47], v[46:47], -v[6:7]
	v_add_f64 v[52:53], v[6:7], -v[52:53]
	v_add_f64 v[30:31], v[30:31], -v[26:27]
	v_add_f64 v[70:71], v[44:45], -v[34:35]
	v_add_f64 v[12:13], v[38:39], v[12:13]
	v_add_f64 v[38:39], v[8:9], v[4:5]
	v_add_f64 v[84:85], v[8:9], -v[4:5]
	v_add_f64 v[4:5], v[4:5], -v[0:1]
	v_add_f64 v[80:81], v[10:11], v[54:55]
	v_add_f64 v[44:45], v[28:29], -v[44:45]
	v_add_f64 v[6:7], v[6:7], v[64:65]
	v_add_f64 v[36:37], v[26:27], -v[36:37]
	v_add_f64 v[34:35], v[34:35], -v[28:29]
	;; [unrolled: 1-line block ×7, first 2 shown]
	v_add_f64 v[14:15], v[42:43], v[14:15]
	v_add_f64 v[28:29], v[62:63], v[28:29]
	;; [unrolled: 1-line block ×3, first 2 shown]
	v_mul_f64 v[16:17], v[16:17], s[16:17]
	v_mul_f64 v[18:19], v[18:19], s[16:17]
	;; [unrolled: 1-line block ×5, first 2 shown]
	v_add_f64 v[56:57], v[56:57], v[74:75]
	v_add_f64 v[32:33], v[32:33], v[12:13]
	v_mul_f64 v[72:73], v[30:31], s[4:5]
	v_add_f64 v[8:9], v[0:1], -v[8:9]
	v_add_f64 v[0:1], v[38:39], v[0:1]
	v_mul_f64 v[38:39], v[46:47], s[16:17]
	v_mul_f64 v[46:47], v[84:85], s[20:21]
	;; [unrolled: 1-line block ×3, first 2 shown]
	v_add_f64 v[68:69], v[68:69], v[6:7]
	v_add_f64 v[10:11], v[48:49], -v[10:11]
	v_add_f64 v[48:49], v[80:81], v[48:49]
	v_mul_f64 v[80:81], v[52:53], s[0:1]
	v_mul_f64 v[64:65], v[70:71], s[20:21]
	;; [unrolled: 1-line block ×6, first 2 shown]
	v_add_f64 v[50:51], v[50:51], v[14:15]
	v_fma_f64 v[20:21], v[20:21], s[0:1], v[16:17]
	v_fma_f64 v[22:23], v[22:23], s[0:1], v[18:19]
	v_fma_f64 v[42:43], v[58:59], s[12:13], -v[42:43]
	v_fma_f64 v[62:63], v[60:61], s[12:13], -v[62:63]
	v_fma_f64 v[16:17], v[58:59], s[14:15], -v[16:17]
	v_fma_f64 v[18:19], v[60:61], s[14:15], -v[18:19]
	v_fma_f64 v[58:59], v[36:37], s[18:19], v[66:67]
	v_add_f64 v[60:61], v[24:25], v[56:57]
	v_fma_f64 v[12:13], v[12:13], s[6:7], v[32:33]
	v_fma_f64 v[24:25], v[30:31], s[4:5], -v[66:67]
	v_fma_f64 v[30:31], v[36:37], s[22:23], -v[72:73]
	v_fma_f64 v[52:53], v[52:53], s[0:1], v[38:39]
	v_fma_f64 v[66:67], v[8:9], s[18:19], v[46:47]
	v_fma_f64 v[4:5], v[4:5], s[4:5], -v[46:47]
	v_fma_f64 v[8:9], v[8:9], s[22:23], -v[74:75]
	v_fma_f64 v[6:7], v[6:7], s[6:7], v[68:69]
	v_fma_f64 v[38:39], v[76:77], s[14:15], -v[38:39]
	v_mul_f64 v[84:85], v[2:3], s[0:1]
	v_fma_f64 v[46:47], v[76:77], s[12:13], -v[80:81]
	v_fma_f64 v[36:37], v[44:45], s[18:19], v[64:65]
	v_fma_f64 v[34:35], v[34:35], s[4:5], -v[64:65]
	v_fma_f64 v[44:45], v[44:45], s[22:23], -v[70:71]
	v_fma_f64 v[2:3], v[2:3], s[0:1], v[40:41]
	v_fma_f64 v[70:71], v[10:11], s[18:19], v[82:83]
	v_fma_f64 v[54:55], v[54:55], s[4:5], -v[82:83]
	v_fma_f64 v[14:15], v[14:15], s[6:7], v[50:51]
	v_fma_f64 v[40:41], v[78:79], s[14:15], -v[40:41]
	v_fma_f64 v[10:11], v[10:11], s[22:23], -v[86:87]
	v_fma_f64 v[58:59], v[26:27], s[10:11], v[58:59]
	v_fma_f64 v[56:57], v[56:57], s[6:7], v[60:61]
	v_add_f64 v[20:21], v[20:21], v[12:13]
	v_fma_f64 v[24:25], v[26:27], s[10:11], v[24:25]
	v_fma_f64 v[26:27], v[26:27], s[10:11], v[30:31]
	v_add_f64 v[16:17], v[16:17], v[12:13]
	v_add_f64 v[12:13], v[42:43], v[12:13]
	v_fma_f64 v[30:31], v[0:1], s[10:11], v[66:67]
	v_fma_f64 v[4:5], v[0:1], s[10:11], v[4:5]
	;; [unrolled: 1-line block ×3, first 2 shown]
	v_add_f64 v[8:9], v[52:53], v[6:7]
	v_add_f64 v[38:39], v[38:39], v[6:7]
	v_fma_f64 v[64:65], v[78:79], s[12:13], -v[84:85]
	v_add_f64 v[6:7], v[46:47], v[6:7]
	v_fma_f64 v[36:37], v[28:29], s[10:11], v[36:37]
	v_fma_f64 v[34:35], v[28:29], s[10:11], v[34:35]
	;; [unrolled: 1-line block ×5, first 2 shown]
	v_add_f64 v[22:23], v[22:23], v[14:15]
	v_add_f64 v[18:19], v[18:19], v[14:15]
	;; [unrolled: 1-line block ×3, first 2 shown]
	v_fma_f64 v[10:11], v[48:49], s[10:11], v[10:11]
	v_add_f64 v[2:3], v[2:3], v[56:57]
	v_add_f64 v[40:41], v[40:41], v[56:57]
	;; [unrolled: 1-line block ×3, first 2 shown]
	v_add_f64 v[20:21], v[20:21], -v[58:59]
	v_add_f64 v[52:53], v[26:27], v[16:17]
	v_add_f64 v[54:55], v[12:13], -v[24:25]
	v_add_f64 v[12:13], v[24:25], v[12:13]
	v_add_f64 v[16:17], v[16:17], -v[26:27]
	v_add_f64 v[24:25], v[30:31], v[8:9]
	v_add_f64 v[26:27], v[0:1], v[38:39]
	v_add_f64 v[46:47], v[64:65], v[56:57]
	v_add_f64 v[56:57], v[6:7], -v[4:5]
	v_add_f64 v[4:5], v[4:5], v[6:7]
	v_add_f64 v[0:1], v[38:39], -v[0:1]
	v_add_f64 v[6:7], v[8:9], -v[30:31]
	ds_write2_b64 v98, v[32:33], v[48:49] offset1:17
	ds_write2_b64 v98, v[52:53], v[54:55] offset0:34 offset1:51
	ds_write2_b64 v98, v[12:13], v[16:17] offset0:68 offset1:85
	;; [unrolled: 1-line block ×6, first 2 shown]
	v_add_f64 v[30:31], v[22:23], -v[36:37]
	v_add_f64 v[38:39], v[18:19], -v[28:29]
	v_add_f64 v[58:59], v[34:35], v[14:15]
	v_add_f64 v[34:35], v[14:15], -v[34:35]
	v_add_f64 v[28:29], v[28:29], v[18:19]
	v_add_f64 v[36:37], v[36:37], v[22:23]
	v_add_f64 v[62:63], v[2:3], -v[42:43]
	v_add_f64 v[64:65], v[40:41], -v[10:11]
	v_add_f64 v[40:41], v[10:11], v[40:41]
	v_add_f64 v[42:43], v[42:43], v[2:3]
	s_waitcnt lgkmcnt(0)
	s_barrier
	buffer_gl0_inv
	ds_read2_b64 v[20:23], v98 offset0:119 offset1:136
	ds_read2_b64 v[0:3], v98 offset0:17 offset1:34
	;; [unrolled: 1-line block ×6, first 2 shown]
	ds_read_b64 v[24:25], v99
	ds_read_b64 v[26:27], v98 offset:1768
	v_add_f64 v[66:67], v[44:45], v[46:47]
	v_add_f64 v[44:45], v[46:47], -v[44:45]
	s_waitcnt lgkmcnt(0)
	s_barrier
	buffer_gl0_inv
	ds_write2_b64 v98, v[50:51], v[30:31] offset1:17
	ds_write2_b64 v98, v[38:39], v[58:59] offset0:34 offset1:51
	ds_write2_b64 v98, v[34:35], v[28:29] offset0:68 offset1:85
	;; [unrolled: 1-line block ×6, first 2 shown]
	s_waitcnt lgkmcnt(0)
	s_barrier
	buffer_gl0_inv
	s_and_saveexec_b32 s0, vcc_lo
	s_cbranch_execz .LBB0_16
; %bb.15:
	v_mov_b32_e32 v93, 0
	v_add_nc_u32_e32 v87, 34, v92
	v_add_nc_u32_e32 v89, 51, v92
	v_add_nc_u32_e32 v90, 0x44, v92
	v_lshlrev_b64 v[80:81], 4, v[92:93]
	v_mul_hi_u32 v96, 0x44d72045, v87
	v_mul_hi_u32 v97, 0x44d72045, v89
	;; [unrolled: 1-line block ×3, first 2 shown]
	v_mov_b32_e32 v87, v93
	v_mov_b32_e32 v89, v93
	v_add_co_u32 v32, vcc_lo, s8, v80
	v_add_co_ci_u32_e32 v33, vcc_lo, s9, v81, vcc_lo
	v_mov_b32_e32 v91, v93
	v_add_co_u32 v36, vcc_lo, 0x660, v32
	v_add_co_ci_u32_e32 v37, vcc_lo, 0, v33, vcc_lo
	v_add_co_u32 v52, vcc_lo, 0x800, v32
	v_add_co_ci_u32_e32 v53, vcc_lo, 0, v33, vcc_lo
	s_clause 0x6
	global_load_dwordx4 v[28:31], v[32:33], off offset:1904
	global_load_dwordx4 v[32:35], v[32:33], off offset:1632
	;; [unrolled: 1-line block ×7, first 2 shown]
	ds_read2_b64 v[56:59], v98 offset0:85 offset1:102
	ds_read2_b64 v[60:63], v98 offset0:187 offset1:204
	;; [unrolled: 1-line block ×6, first 2 shown]
	ds_read_b64 v[82:83], v98 offset:1768
	ds_read_b64 v[84:85], v99
	v_add_co_u32 v86, vcc_lo, s2, v94
	v_add_nc_u32_e32 v94, 0x55, v92
	v_add_co_ci_u32_e32 v88, vcc_lo, s3, v95, vcc_lo
	v_add_nc_u32_e32 v92, 0x66, v92
	v_add_co_u32 v80, vcc_lo, v86, v80
	v_lshrrev_b32_e32 v86, 5, v96
	v_mul_hi_u32 v94, 0x44d72045, v94
	v_add_co_ci_u32_e32 v81, vcc_lo, v88, v81, vcc_lo
	v_lshrrev_b32_e32 v88, 5, v97
	v_mul_hi_u32 v92, 0x44d72045, v92
	v_mul_lo_u32 v86, 0x77, v86
	v_lshrrev_b32_e32 v90, 5, v90
	v_add_co_u32 v96, vcc_lo, 0x800, v80
	v_mul_lo_u32 v88, 0x77, v88
	v_lshrrev_b32_e32 v94, 5, v94
	v_mul_lo_u32 v90, 0x77, v90
	v_lshrrev_b32_e32 v92, 5, v92
	v_lshlrev_b64 v[86:87], 4, v[86:87]
	v_mov_b32_e32 v95, v93
	v_mul_lo_u32 v94, 0x77, v94
	v_add_co_ci_u32_e32 v97, vcc_lo, 0, v81, vcc_lo
	v_lshlrev_b64 v[88:89], 4, v[88:89]
	v_mul_lo_u32 v92, 0x77, v92
	v_lshlrev_b64 v[90:91], 4, v[90:91]
	v_add_co_u32 v86, vcc_lo, v80, v86
	v_add_co_ci_u32_e32 v87, vcc_lo, v81, v87, vcc_lo
	v_lshlrev_b64 v[94:95], 4, v[94:95]
	v_add_co_u32 v88, vcc_lo, v80, v88
	v_add_co_ci_u32_e32 v89, vcc_lo, v81, v89, vcc_lo
	;; [unrolled: 3-line block ×3, first 2 shown]
	s_waitcnt vmcnt(5)
	v_mul_f64 v[100:101], v[20:21], v[34:35]
	s_waitcnt lgkmcnt(2)
	v_mul_f64 v[34:35], v[76:77], v[34:35]
	s_waitcnt vmcnt(4)
	v_mul_f64 v[102:103], v[26:27], v[38:39]
	s_waitcnt lgkmcnt(1)
	v_mul_f64 v[38:39], v[82:83], v[38:39]
	v_mul_f64 v[98:99], v[22:23], v[30:31]
	v_mul_f64 v[30:31], v[78:79], v[30:31]
	s_waitcnt vmcnt(3)
	v_mul_f64 v[104:105], v[18:19], v[42:43]
	v_mul_f64 v[42:43], v[62:63], v[42:43]
	s_waitcnt vmcnt(2)
	v_mul_f64 v[106:107], v[16:17], v[46:47]
	v_mul_f64 v[46:47], v[60:61], v[46:47]
	s_waitcnt vmcnt(1)
	v_mul_f64 v[108:109], v[14:15], v[50:51]
	s_waitcnt vmcnt(0)
	v_mul_f64 v[110:111], v[12:13], v[54:55]
	v_mul_f64 v[54:55], v[68:69], v[54:55]
	;; [unrolled: 1-line block ×3, first 2 shown]
	v_fma_f64 v[20:21], v[20:21], v[32:33], v[34:35]
	v_fma_f64 v[26:27], v[26:27], v[36:37], v[38:39]
	v_fma_f64 v[78:79], v[78:79], v[28:29], -v[98:99]
	v_fma_f64 v[22:23], v[22:23], v[28:29], v[30:31]
	v_fma_f64 v[28:29], v[76:77], v[32:33], -v[100:101]
	v_fma_f64 v[30:31], v[82:83], v[36:37], -v[102:103]
	;; [unrolled: 1-line block ×3, first 2 shown]
	v_fma_f64 v[34:35], v[18:19], v[40:41], v[42:43]
	v_fma_f64 v[36:37], v[60:61], v[44:45], -v[106:107]
	v_fma_f64 v[38:39], v[16:17], v[44:45], v[46:47]
	v_fma_f64 v[40:41], v[70:71], v[48:49], -v[108:109]
	v_fma_f64 v[42:43], v[68:69], v[52:53], -v[110:111]
	v_fma_f64 v[44:45], v[12:13], v[52:53], v[54:55]
	v_fma_f64 v[46:47], v[14:15], v[48:49], v[50:51]
	v_add_co_u32 v62, vcc_lo, v80, v94
	v_add_co_ci_u32_e32 v63, vcc_lo, v81, v95, vcc_lo
	v_add_co_u32 v68, vcc_lo, v80, v92
	v_add_co_ci_u32_e32 v69, vcc_lo, v81, v93, vcc_lo
	v_add_f64 v[16:17], v[24:25], -v[20:21]
	v_add_f64 v[20:21], v[10:11], -v[26:27]
	;; [unrolled: 1-line block ×4, first 2 shown]
	s_waitcnt lgkmcnt(0)
	v_add_f64 v[18:19], v[84:85], -v[28:29]
	v_add_f64 v[22:23], v[58:59], -v[30:31]
	;; [unrolled: 1-line block ×10, first 2 shown]
	v_add_co_u32 v70, vcc_lo, 0x220, v86
	v_add_co_ci_u32_e32 v71, vcc_lo, 0, v87, vcc_lo
	v_add_co_u32 v76, vcc_lo, 0x330, v88
	v_add_co_ci_u32_e32 v77, vcc_lo, 0, v89, vcc_lo
	v_fma_f64 v[46:47], v[24:25], 2.0, -v[16:17]
	v_fma_f64 v[50:51], v[10:11], 2.0, -v[20:21]
	;; [unrolled: 1-line block ×14, first 2 shown]
	v_add_co_u32 v0, vcc_lo, 0x440, v90
	v_add_co_ci_u32_e32 v1, vcc_lo, 0, v91, vcc_lo
	v_add_co_u32 v2, vcc_lo, 0x550, v62
	v_add_co_ci_u32_e32 v3, vcc_lo, 0, v63, vcc_lo
	;; [unrolled: 2-line block ×3, first 2 shown]
	global_store_dwordx4 v[80:81], v[16:19], off offset:1904
	global_store_dwordx4 v[96:97], v[12:15], off offset:128
	;; [unrolled: 1-line block ×6, first 2 shown]
	global_store_dwordx4 v[80:81], v[46:49], off
	global_store_dwordx4 v[80:81], v[42:45], off offset:272
	global_store_dwordx4 v[86:87], v[58:61], off offset:544
	;; [unrolled: 1-line block ×7, first 2 shown]
.LBB0_16:
	s_endpgm
	.section	.rodata,"a",@progbits
	.p2align	6, 0x0
	.amdhsa_kernel fft_rtc_back_len238_factors_17_7_2_wgs_51_tpt_17_halfLds_dp_ip_CI_unitstride_sbrr_dirReg
		.amdhsa_group_segment_fixed_size 0
		.amdhsa_private_segment_fixed_size 0
		.amdhsa_kernarg_size 88
		.amdhsa_user_sgpr_count 6
		.amdhsa_user_sgpr_private_segment_buffer 1
		.amdhsa_user_sgpr_dispatch_ptr 0
		.amdhsa_user_sgpr_queue_ptr 0
		.amdhsa_user_sgpr_kernarg_segment_ptr 1
		.amdhsa_user_sgpr_dispatch_id 0
		.amdhsa_user_sgpr_flat_scratch_init 0
		.amdhsa_user_sgpr_private_segment_size 0
		.amdhsa_wavefront_size32 1
		.amdhsa_uses_dynamic_stack 0
		.amdhsa_system_sgpr_private_segment_wavefront_offset 0
		.amdhsa_system_sgpr_workgroup_id_x 1
		.amdhsa_system_sgpr_workgroup_id_y 0
		.amdhsa_system_sgpr_workgroup_id_z 0
		.amdhsa_system_sgpr_workgroup_info 0
		.amdhsa_system_vgpr_workitem_id 0
		.amdhsa_next_free_vgpr 245
		.amdhsa_next_free_sgpr 56
		.amdhsa_reserve_vcc 1
		.amdhsa_reserve_flat_scratch 0
		.amdhsa_float_round_mode_32 0
		.amdhsa_float_round_mode_16_64 0
		.amdhsa_float_denorm_mode_32 3
		.amdhsa_float_denorm_mode_16_64 3
		.amdhsa_dx10_clamp 1
		.amdhsa_ieee_mode 1
		.amdhsa_fp16_overflow 0
		.amdhsa_workgroup_processor_mode 1
		.amdhsa_memory_ordered 1
		.amdhsa_forward_progress 0
		.amdhsa_shared_vgpr_count 0
		.amdhsa_exception_fp_ieee_invalid_op 0
		.amdhsa_exception_fp_denorm_src 0
		.amdhsa_exception_fp_ieee_div_zero 0
		.amdhsa_exception_fp_ieee_overflow 0
		.amdhsa_exception_fp_ieee_underflow 0
		.amdhsa_exception_fp_ieee_inexact 0
		.amdhsa_exception_int_div_zero 0
	.end_amdhsa_kernel
	.text
.Lfunc_end0:
	.size	fft_rtc_back_len238_factors_17_7_2_wgs_51_tpt_17_halfLds_dp_ip_CI_unitstride_sbrr_dirReg, .Lfunc_end0-fft_rtc_back_len238_factors_17_7_2_wgs_51_tpt_17_halfLds_dp_ip_CI_unitstride_sbrr_dirReg
                                        ; -- End function
	.section	.AMDGPU.csdata,"",@progbits
; Kernel info:
; codeLenInByte = 11504
; NumSgprs: 58
; NumVgprs: 245
; ScratchSize: 0
; MemoryBound: 1
; FloatMode: 240
; IeeeMode: 1
; LDSByteSize: 0 bytes/workgroup (compile time only)
; SGPRBlocks: 7
; VGPRBlocks: 30
; NumSGPRsForWavesPerEU: 58
; NumVGPRsForWavesPerEU: 245
; Occupancy: 4
; WaveLimiterHint : 1
; COMPUTE_PGM_RSRC2:SCRATCH_EN: 0
; COMPUTE_PGM_RSRC2:USER_SGPR: 6
; COMPUTE_PGM_RSRC2:TRAP_HANDLER: 0
; COMPUTE_PGM_RSRC2:TGID_X_EN: 1
; COMPUTE_PGM_RSRC2:TGID_Y_EN: 0
; COMPUTE_PGM_RSRC2:TGID_Z_EN: 0
; COMPUTE_PGM_RSRC2:TIDIG_COMP_CNT: 0
	.text
	.p2alignl 6, 3214868480
	.fill 48, 4, 3214868480
	.type	__hip_cuid_94d42ffe7bcf2d68,@object ; @__hip_cuid_94d42ffe7bcf2d68
	.section	.bss,"aw",@nobits
	.globl	__hip_cuid_94d42ffe7bcf2d68
__hip_cuid_94d42ffe7bcf2d68:
	.byte	0                               ; 0x0
	.size	__hip_cuid_94d42ffe7bcf2d68, 1

	.ident	"AMD clang version 19.0.0git (https://github.com/RadeonOpenCompute/llvm-project roc-6.4.0 25133 c7fe45cf4b819c5991fe208aaa96edf142730f1d)"
	.section	".note.GNU-stack","",@progbits
	.addrsig
	.addrsig_sym __hip_cuid_94d42ffe7bcf2d68
	.amdgpu_metadata
---
amdhsa.kernels:
  - .args:
      - .actual_access:  read_only
        .address_space:  global
        .offset:         0
        .size:           8
        .value_kind:     global_buffer
      - .offset:         8
        .size:           8
        .value_kind:     by_value
      - .actual_access:  read_only
        .address_space:  global
        .offset:         16
        .size:           8
        .value_kind:     global_buffer
      - .actual_access:  read_only
        .address_space:  global
        .offset:         24
        .size:           8
        .value_kind:     global_buffer
      - .offset:         32
        .size:           8
        .value_kind:     by_value
      - .actual_access:  read_only
        .address_space:  global
        .offset:         40
        .size:           8
        .value_kind:     global_buffer
      - .actual_access:  read_only
        .address_space:  global
        .offset:         48
        .size:           8
        .value_kind:     global_buffer
      - .offset:         56
        .size:           4
        .value_kind:     by_value
      - .actual_access:  read_only
        .address_space:  global
        .offset:         64
        .size:           8
        .value_kind:     global_buffer
      - .actual_access:  read_only
        .address_space:  global
        .offset:         72
        .size:           8
        .value_kind:     global_buffer
      - .address_space:  global
        .offset:         80
        .size:           8
        .value_kind:     global_buffer
    .group_segment_fixed_size: 0
    .kernarg_segment_align: 8
    .kernarg_segment_size: 88
    .language:       OpenCL C
    .language_version:
      - 2
      - 0
    .max_flat_workgroup_size: 51
    .name:           fft_rtc_back_len238_factors_17_7_2_wgs_51_tpt_17_halfLds_dp_ip_CI_unitstride_sbrr_dirReg
    .private_segment_fixed_size: 0
    .sgpr_count:     58
    .sgpr_spill_count: 0
    .symbol:         fft_rtc_back_len238_factors_17_7_2_wgs_51_tpt_17_halfLds_dp_ip_CI_unitstride_sbrr_dirReg.kd
    .uniform_work_group_size: 1
    .uses_dynamic_stack: false
    .vgpr_count:     245
    .vgpr_spill_count: 0
    .wavefront_size: 32
    .workgroup_processor_mode: 1
amdhsa.target:   amdgcn-amd-amdhsa--gfx1030
amdhsa.version:
  - 1
  - 2
...

	.end_amdgpu_metadata
